;; amdgpu-corpus repo=ROCm/rocFFT kind=compiled arch=gfx906 opt=O3
	.text
	.amdgcn_target "amdgcn-amd-amdhsa--gfx906"
	.amdhsa_code_object_version 6
	.protected	fft_rtc_fwd_len1080_factors_6_10_6_3_wgs_216_tpt_108_halfLds_dp_ip_CI_unitstride_sbrr_R2C_dirReg ; -- Begin function fft_rtc_fwd_len1080_factors_6_10_6_3_wgs_216_tpt_108_halfLds_dp_ip_CI_unitstride_sbrr_R2C_dirReg
	.globl	fft_rtc_fwd_len1080_factors_6_10_6_3_wgs_216_tpt_108_halfLds_dp_ip_CI_unitstride_sbrr_R2C_dirReg
	.p2align	8
	.type	fft_rtc_fwd_len1080_factors_6_10_6_3_wgs_216_tpt_108_halfLds_dp_ip_CI_unitstride_sbrr_R2C_dirReg,@function
fft_rtc_fwd_len1080_factors_6_10_6_3_wgs_216_tpt_108_halfLds_dp_ip_CI_unitstride_sbrr_R2C_dirReg: ; @fft_rtc_fwd_len1080_factors_6_10_6_3_wgs_216_tpt_108_halfLds_dp_ip_CI_unitstride_sbrr_R2C_dirReg
; %bb.0:
	s_load_dwordx2 s[12:13], s[4:5], 0x50
	s_load_dwordx4 s[8:11], s[4:5], 0x0
	s_load_dwordx2 s[2:3], s[4:5], 0x18
	v_mul_u32_u24_e32 v1, 0x25f, v0
	v_lshrrev_b32_e32 v9, 16, v1
	v_mov_b32_e32 v3, 0
	s_waitcnt lgkmcnt(0)
	v_cmp_lt_u64_e64 s[0:1], s[10:11], 2
	v_mov_b32_e32 v1, 0
	v_lshl_add_u32 v5, s6, 1, v9
	v_mov_b32_e32 v6, v3
	s_and_b64 vcc, exec, s[0:1]
	v_mov_b32_e32 v2, 0
	s_cbranch_vccnz .LBB0_8
; %bb.1:
	s_load_dwordx2 s[0:1], s[4:5], 0x10
	s_add_u32 s6, s2, 8
	s_addc_u32 s7, s3, 0
	v_mov_b32_e32 v1, 0
	v_mov_b32_e32 v2, 0
	s_waitcnt lgkmcnt(0)
	s_add_u32 s14, s0, 8
	s_addc_u32 s15, s1, 0
	s_mov_b64 s[16:17], 1
.LBB0_2:                                ; =>This Inner Loop Header: Depth=1
	s_load_dwordx2 s[18:19], s[14:15], 0x0
                                        ; implicit-def: $vgpr7_vgpr8
	s_waitcnt lgkmcnt(0)
	v_or_b32_e32 v4, s19, v6
	v_cmp_ne_u64_e32 vcc, 0, v[3:4]
	s_and_saveexec_b64 s[0:1], vcc
	s_xor_b64 s[20:21], exec, s[0:1]
	s_cbranch_execz .LBB0_4
; %bb.3:                                ;   in Loop: Header=BB0_2 Depth=1
	v_cvt_f32_u32_e32 v4, s18
	v_cvt_f32_u32_e32 v7, s19
	s_sub_u32 s0, 0, s18
	s_subb_u32 s1, 0, s19
	v_mac_f32_e32 v4, 0x4f800000, v7
	v_rcp_f32_e32 v4, v4
	v_mul_f32_e32 v4, 0x5f7ffffc, v4
	v_mul_f32_e32 v7, 0x2f800000, v4
	v_trunc_f32_e32 v7, v7
	v_mac_f32_e32 v4, 0xcf800000, v7
	v_cvt_u32_f32_e32 v7, v7
	v_cvt_u32_f32_e32 v4, v4
	v_mul_lo_u32 v8, s0, v7
	v_mul_hi_u32 v10, s0, v4
	v_mul_lo_u32 v12, s1, v4
	v_mul_lo_u32 v11, s0, v4
	v_add_u32_e32 v8, v10, v8
	v_add_u32_e32 v8, v8, v12
	v_mul_hi_u32 v10, v4, v11
	v_mul_lo_u32 v12, v4, v8
	v_mul_hi_u32 v14, v4, v8
	v_mul_hi_u32 v13, v7, v11
	v_mul_lo_u32 v11, v7, v11
	v_mul_hi_u32 v15, v7, v8
	v_add_co_u32_e32 v10, vcc, v10, v12
	v_addc_co_u32_e32 v12, vcc, 0, v14, vcc
	v_mul_lo_u32 v8, v7, v8
	v_add_co_u32_e32 v10, vcc, v10, v11
	v_addc_co_u32_e32 v10, vcc, v12, v13, vcc
	v_addc_co_u32_e32 v11, vcc, 0, v15, vcc
	v_add_co_u32_e32 v8, vcc, v10, v8
	v_addc_co_u32_e32 v10, vcc, 0, v11, vcc
	v_add_co_u32_e32 v4, vcc, v4, v8
	v_addc_co_u32_e32 v7, vcc, v7, v10, vcc
	v_mul_lo_u32 v8, s0, v7
	v_mul_hi_u32 v10, s0, v4
	v_mul_lo_u32 v11, s1, v4
	v_mul_lo_u32 v12, s0, v4
	v_add_u32_e32 v8, v10, v8
	v_add_u32_e32 v8, v8, v11
	v_mul_lo_u32 v13, v4, v8
	v_mul_hi_u32 v14, v4, v12
	v_mul_hi_u32 v15, v4, v8
	;; [unrolled: 1-line block ×3, first 2 shown]
	v_mul_lo_u32 v12, v7, v12
	v_mul_hi_u32 v10, v7, v8
	v_add_co_u32_e32 v13, vcc, v14, v13
	v_addc_co_u32_e32 v14, vcc, 0, v15, vcc
	v_mul_lo_u32 v8, v7, v8
	v_add_co_u32_e32 v12, vcc, v13, v12
	v_addc_co_u32_e32 v11, vcc, v14, v11, vcc
	v_addc_co_u32_e32 v10, vcc, 0, v10, vcc
	v_add_co_u32_e32 v8, vcc, v11, v8
	v_addc_co_u32_e32 v10, vcc, 0, v10, vcc
	v_add_co_u32_e32 v4, vcc, v4, v8
	v_addc_co_u32_e32 v10, vcc, v7, v10, vcc
	v_mad_u64_u32 v[7:8], s[0:1], v5, v10, 0
	v_mul_hi_u32 v11, v5, v4
	v_add_co_u32_e32 v12, vcc, v11, v7
	v_addc_co_u32_e32 v13, vcc, 0, v8, vcc
	v_mad_u64_u32 v[7:8], s[0:1], v6, v4, 0
	v_mad_u64_u32 v[10:11], s[0:1], v6, v10, 0
	v_add_co_u32_e32 v4, vcc, v12, v7
	v_addc_co_u32_e32 v4, vcc, v13, v8, vcc
	v_addc_co_u32_e32 v7, vcc, 0, v11, vcc
	v_add_co_u32_e32 v4, vcc, v4, v10
	v_addc_co_u32_e32 v10, vcc, 0, v7, vcc
	v_mul_lo_u32 v11, s19, v4
	v_mul_lo_u32 v12, s18, v10
	v_mad_u64_u32 v[7:8], s[0:1], s18, v4, 0
	v_add3_u32 v8, v8, v12, v11
	v_sub_u32_e32 v11, v6, v8
	v_mov_b32_e32 v12, s19
	v_sub_co_u32_e32 v7, vcc, v5, v7
	v_subb_co_u32_e64 v11, s[0:1], v11, v12, vcc
	v_subrev_co_u32_e64 v12, s[0:1], s18, v7
	v_subbrev_co_u32_e64 v11, s[0:1], 0, v11, s[0:1]
	v_cmp_le_u32_e64 s[0:1], s19, v11
	v_cndmask_b32_e64 v13, 0, -1, s[0:1]
	v_cmp_le_u32_e64 s[0:1], s18, v12
	v_cndmask_b32_e64 v12, 0, -1, s[0:1]
	v_cmp_eq_u32_e64 s[0:1], s19, v11
	v_cndmask_b32_e64 v11, v13, v12, s[0:1]
	v_add_co_u32_e64 v12, s[0:1], 2, v4
	v_addc_co_u32_e64 v13, s[0:1], 0, v10, s[0:1]
	v_add_co_u32_e64 v14, s[0:1], 1, v4
	v_addc_co_u32_e64 v15, s[0:1], 0, v10, s[0:1]
	v_subb_co_u32_e32 v8, vcc, v6, v8, vcc
	v_cmp_ne_u32_e64 s[0:1], 0, v11
	v_cmp_le_u32_e32 vcc, s19, v8
	v_cndmask_b32_e64 v11, v15, v13, s[0:1]
	v_cndmask_b32_e64 v13, 0, -1, vcc
	v_cmp_le_u32_e32 vcc, s18, v7
	v_cndmask_b32_e64 v7, 0, -1, vcc
	v_cmp_eq_u32_e32 vcc, s19, v8
	v_cndmask_b32_e32 v7, v13, v7, vcc
	v_cmp_ne_u32_e32 vcc, 0, v7
	v_cndmask_b32_e64 v7, v14, v12, s[0:1]
	v_cndmask_b32_e32 v8, v10, v11, vcc
	v_cndmask_b32_e32 v7, v4, v7, vcc
.LBB0_4:                                ;   in Loop: Header=BB0_2 Depth=1
	s_andn2_saveexec_b64 s[0:1], s[20:21]
	s_cbranch_execz .LBB0_6
; %bb.5:                                ;   in Loop: Header=BB0_2 Depth=1
	v_cvt_f32_u32_e32 v4, s18
	s_sub_i32 s20, 0, s18
	v_rcp_iflag_f32_e32 v4, v4
	v_mul_f32_e32 v4, 0x4f7ffffe, v4
	v_cvt_u32_f32_e32 v4, v4
	v_mul_lo_u32 v7, s20, v4
	v_mul_hi_u32 v7, v4, v7
	v_add_u32_e32 v4, v4, v7
	v_mul_hi_u32 v4, v5, v4
	v_mul_lo_u32 v7, v4, s18
	v_add_u32_e32 v8, 1, v4
	v_sub_u32_e32 v7, v5, v7
	v_subrev_u32_e32 v10, s18, v7
	v_cmp_le_u32_e32 vcc, s18, v7
	v_cndmask_b32_e32 v7, v7, v10, vcc
	v_cndmask_b32_e32 v4, v4, v8, vcc
	v_add_u32_e32 v8, 1, v4
	v_cmp_le_u32_e32 vcc, s18, v7
	v_cndmask_b32_e32 v7, v4, v8, vcc
	v_mov_b32_e32 v8, v3
.LBB0_6:                                ;   in Loop: Header=BB0_2 Depth=1
	s_or_b64 exec, exec, s[0:1]
	v_mul_lo_u32 v4, v8, s18
	v_mul_lo_u32 v12, v7, s19
	v_mad_u64_u32 v[10:11], s[0:1], v7, s18, 0
	s_load_dwordx2 s[0:1], s[6:7], 0x0
	s_add_u32 s16, s16, 1
	v_add3_u32 v4, v11, v12, v4
	v_sub_co_u32_e32 v5, vcc, v5, v10
	v_subb_co_u32_e32 v4, vcc, v6, v4, vcc
	s_waitcnt lgkmcnt(0)
	v_mul_lo_u32 v4, s0, v4
	v_mul_lo_u32 v6, s1, v5
	v_mad_u64_u32 v[1:2], s[0:1], s0, v5, v[1:2]
	s_addc_u32 s17, s17, 0
	s_add_u32 s6, s6, 8
	v_add3_u32 v2, v6, v2, v4
	v_mov_b32_e32 v4, s10
	v_mov_b32_e32 v5, s11
	s_addc_u32 s7, s7, 0
	v_cmp_ge_u64_e32 vcc, s[16:17], v[4:5]
	s_add_u32 s14, s14, 8
	s_addc_u32 s15, s15, 0
	s_cbranch_vccnz .LBB0_9
; %bb.7:                                ;   in Loop: Header=BB0_2 Depth=1
	v_mov_b32_e32 v5, v7
	v_mov_b32_e32 v6, v8
	s_branch .LBB0_2
.LBB0_8:
	v_mov_b32_e32 v8, v6
	v_mov_b32_e32 v7, v5
.LBB0_9:
	s_lshl_b64 s[0:1], s[10:11], 3
	s_add_u32 s0, s2, s0
	s_addc_u32 s1, s3, s1
	s_load_dwordx2 s[2:3], s[0:1], 0x0
	s_load_dwordx2 s[6:7], s[4:5], 0x20
	v_and_b32_e32 v5, 1, v9
	v_cmp_eq_u32_e32 vcc, 1, v5
                                        ; implicit-def: $vgpr52
	s_waitcnt lgkmcnt(0)
	v_mul_lo_u32 v3, s2, v8
	v_mul_lo_u32 v4, s3, v7
	v_mad_u64_u32 v[1:2], s[0:1], s2, v7, v[1:2]
	s_mov_b32 s0, 0x25ed098
	v_cmp_le_u64_e64 s[2:3], s[6:7], v[7:8]
	v_add3_u32 v2, v4, v2, v3
	v_mul_hi_u32 v4, v0, s0
	v_cmp_gt_u64_e64 s[0:1], s[6:7], v[7:8]
	v_mov_b32_e32 v3, 0x439
	v_mul_u32_u24_e32 v4, 0x6c, v4
	v_sub_u32_e32 v48, v0, v4
	s_and_saveexec_b64 s[4:5], s[2:3]
	s_xor_b64 s[2:3], exec, s[4:5]
; %bb.10:
	v_add_u32_e32 v52, 0x6c, v48
; %bb.11:
	s_or_saveexec_b64 s[2:3], s[2:3]
	v_cndmask_b32_e32 v58, 0, v3, vcc
	v_lshlrev_b64 v[50:51], 4, v[1:2]
	v_lshlrev_b32_e32 v53, 4, v58
	v_lshlrev_b32_e32 v57, 4, v48
	s_xor_b64 exec, exec, s[2:3]
	s_cbranch_execz .LBB0_13
; %bb.12:
	v_mov_b32_e32 v49, 0
	v_mov_b32_e32 v0, s13
	v_add_co_u32_e32 v2, vcc, s12, v50
	v_addc_co_u32_e32 v3, vcc, v0, v51, vcc
	v_lshlrev_b64 v[0:1], 4, v[48:49]
	s_movk_i32 s4, 0x1000
	v_add_co_u32_e32 v31, vcc, v2, v0
	v_addc_co_u32_e32 v32, vcc, v3, v1, vcc
	v_add_co_u32_e32 v24, vcc, s4, v31
	v_addc_co_u32_e32 v25, vcc, 0, v32, vcc
	s_movk_i32 s4, 0x2000
	v_add_co_u32_e32 v33, vcc, s4, v31
	v_addc_co_u32_e32 v34, vcc, 0, v32, vcc
	v_add_co_u32_e32 v40, vcc, 0x3000, v31
	v_addc_co_u32_e32 v41, vcc, 0, v32, vcc
	global_load_dwordx4 v[0:3], v[31:32], off
	global_load_dwordx4 v[4:7], v[31:32], off offset:1728
	global_load_dwordx4 v[8:11], v[31:32], off offset:3456
	;; [unrolled: 1-line block ×5, first 2 shown]
	s_nop 0
	global_load_dwordx4 v[24:27], v[33:34], off offset:2176
	global_load_dwordx4 v[28:31], v[33:34], off offset:3904
	s_nop 0
	global_load_dwordx4 v[32:35], v[40:41], off offset:1536
	global_load_dwordx4 v[36:39], v[40:41], off offset:3264
	v_add3_u32 v40, 0, v53, v57
	v_add_u32_e32 v52, 0x6c, v48
	s_waitcnt vmcnt(9)
	ds_write_b128 v40, v[0:3]
	s_waitcnt vmcnt(8)
	ds_write_b128 v40, v[4:7] offset:1728
	s_waitcnt vmcnt(7)
	ds_write_b128 v40, v[8:11] offset:3456
	;; [unrolled: 2-line block ×9, first 2 shown]
.LBB0_13:
	s_or_b64 exec, exec, s[2:3]
	v_add_u32_e32 v54, 0, v57
	v_add_u32_e32 v56, 0, v53
	v_add_u32_e32 v49, v54, v53
	s_waitcnt lgkmcnt(0)
	s_barrier
	v_add_u32_e32 v55, v56, v57
	ds_read_b128 v[0:3], v49 offset:5760
	ds_read_b128 v[4:7], v55
	ds_read_b128 v[8:11], v49 offset:1728
	ds_read_b128 v[12:15], v49 offset:7488
	;; [unrolled: 1-line block ×10, first 2 shown]
	s_waitcnt lgkmcnt(5)
	v_add_f64 v[65:66], v[38:39], v[42:43]
	v_add_f64 v[69:70], v[36:37], v[40:41]
	;; [unrolled: 1-line block ×4, first 2 shown]
	s_waitcnt lgkmcnt(1)
	v_add_f64 v[71:72], v[44:45], v[36:37]
	v_add_f64 v[36:37], v[36:37], -v[40:41]
	s_mov_b32 s2, 0xe8584caa
	s_mov_b32 s3, 0x3febb67a
	v_fma_f64 v[65:66], v[65:66], -0.5, v[46:47]
	v_add_f64 v[46:47], v[46:47], v[38:39]
	v_add_f64 v[38:39], v[38:39], -v[42:43]
	v_fma_f64 v[44:45], v[69:70], -0.5, v[44:45]
	s_mov_b32 s5, 0xbfebb67a
	s_mov_b32 s4, s2
	v_add_f64 v[63:64], v[0:1], v[32:33]
	v_add_f64 v[67:68], v[2:3], -v[34:35]
	v_add_f64 v[2:3], v[2:3], v[34:35]
	v_fma_f64 v[69:70], v[36:37], s[4:5], v[65:66]
	v_add_f64 v[73:74], v[0:1], -v[32:33]
	v_add_f64 v[32:33], v[59:60], v[32:33]
	v_add_f64 v[34:35], v[61:62], v[34:35]
	;; [unrolled: 1-line block ×3, first 2 shown]
	v_fma_f64 v[61:62], v[38:39], s[2:3], v[44:45]
	v_fma_f64 v[38:39], v[38:39], s[4:5], v[44:45]
	v_add_f64 v[42:43], v[46:47], v[42:43]
	v_mul_f64 v[46:47], v[69:70], s[2:3]
	v_fma_f64 v[36:37], v[36:37], s[2:3], v[65:66]
	v_fma_f64 v[6:7], v[2:3], -0.5, v[6:7]
	v_fma_f64 v[4:5], v[63:64], -0.5, v[4:5]
	v_add_f64 v[0:1], v[32:33], v[40:41]
	v_mul_f64 v[44:45], v[61:62], s[4:5]
	v_add_f64 v[59:60], v[32:33], -v[40:41]
	v_mul_f64 v[40:41], v[38:39], -0.5
	v_add_f64 v[2:3], v[34:35], v[42:43]
	v_fma_f64 v[32:33], v[61:62], 0.5, v[46:47]
	v_mul_f64 v[46:47], v[36:37], -0.5
	v_add_f64 v[61:62], v[34:35], -v[42:43]
	v_fma_f64 v[42:43], v[73:74], s[4:5], v[6:7]
	v_fma_f64 v[34:35], v[69:70], 0.5, v[44:45]
	v_add_f64 v[44:45], v[26:27], v[22:23]
	v_fma_f64 v[36:37], v[36:37], s[2:3], v[40:41]
	v_add_f64 v[40:41], v[24:25], v[20:21]
	v_fma_f64 v[71:72], v[67:68], s[2:3], v[4:5]
	v_fma_f64 v[4:5], v[67:68], s[4:5], v[4:5]
	v_fma_f64 v[6:7], v[73:74], s[2:3], v[6:7]
	v_fma_f64 v[38:39], v[38:39], s[4:5], v[46:47]
	v_add_f64 v[65:66], v[42:43], v[34:35]
	v_add_f64 v[69:70], v[42:43], -v[34:35]
	v_add_f64 v[42:43], v[24:25], -v[20:21]
	s_waitcnt lgkmcnt(0)
	v_fma_f64 v[34:35], v[40:41], -0.5, v[28:29]
	v_fma_f64 v[40:41], v[44:45], -0.5, v[30:31]
	v_add_f64 v[44:45], v[26:27], -v[22:23]
	v_add_f64 v[63:64], v[71:72], v[32:33]
	v_add_f64 v[67:68], v[71:72], -v[32:33]
	v_add_f64 v[71:72], v[4:5], v[36:37]
	v_add_f64 v[73:74], v[6:7], v[38:39]
	;; [unrolled: 1-line block ×3, first 2 shown]
	v_add_f64 v[75:76], v[4:5], -v[36:37]
	v_add_f64 v[77:78], v[6:7], -v[38:39]
	v_add_f64 v[4:5], v[14:15], v[18:19]
	v_fma_f64 v[38:39], v[42:43], s[4:5], v[40:41]
	v_fma_f64 v[36:37], v[44:45], s[2:3], v[34:35]
	;; [unrolled: 1-line block ×4, first 2 shown]
	v_fma_f64 v[6:7], v[32:33], -0.5, v[8:9]
	v_add_f64 v[34:35], v[14:15], -v[18:19]
	v_add_f64 v[42:43], v[12:13], -v[16:17]
	v_fma_f64 v[4:5], v[4:5], -0.5, v[10:11]
	v_mul_f64 v[81:82], v[38:39], s[2:3]
	v_mul_f64 v[83:84], v[36:37], s[4:5]
	v_mul_f64 v[85:86], v[46:47], -0.5
	v_mul_f64 v[87:88], v[79:80], -0.5
	v_fma_f64 v[32:33], v[34:35], s[2:3], v[6:7]
	v_fma_f64 v[34:35], v[34:35], s[4:5], v[6:7]
	;; [unrolled: 1-line block ×4, first 2 shown]
	v_fma_f64 v[36:37], v[36:37], 0.5, v[81:82]
	v_fma_f64 v[42:43], v[38:39], 0.5, v[83:84]
	v_fma_f64 v[38:39], v[79:80], s[2:3], v[85:86]
	v_fma_f64 v[46:47], v[46:47], s[4:5], v[87:88]
	s_movk_i32 s2, 0x50
	v_mad_u32_u24 v54, v48, s2, v54
	v_add_u32_e32 v79, v54, v53
	s_barrier
	ds_write_b128 v79, v[0:3]
	v_add_f64 v[0:1], v[32:33], -v[36:37]
	v_add_f64 v[2:3], v[40:41], -v[42:43]
	;; [unrolled: 1-line block ×4, first 2 shown]
	s_movk_i32 s2, 0x48
	v_cmp_gt_u32_e32 vcc, s2, v48
	ds_write_b128 v79, v[63:66] offset:16
	ds_write_b128 v79, v[71:74] offset:32
	;; [unrolled: 1-line block ×5, first 2 shown]
	s_and_saveexec_b64 s[2:3], vcc
	s_cbranch_execz .LBB0_15
; %bb.14:
	v_add_f64 v[10:11], v[10:11], v[14:15]
	v_add_f64 v[14:15], v[30:31], v[26:27]
	;; [unrolled: 1-line block ×12, first 2 shown]
	v_add_f64 v[18:19], v[24:25], -v[22:23]
	v_add_f64 v[22:23], v[24:25], v[22:23]
	v_add_f64 v[20:21], v[16:17], v[26:27]
	v_add_f64 v[16:17], v[16:17], -v[26:27]
	v_mul_i32_i24_e32 v24, 6, v52
	v_lshlrev_b32_e32 v24, 4, v24
	v_add3_u32 v24, 0, v24, v53
	ds_write_b128 v24, v[0:3] offset:64
	ds_write_b128 v24, v[12:15] offset:16
	;; [unrolled: 1-line block ×3, first 2 shown]
	ds_write_b128 v24, v[20:23]
	ds_write_b128 v24, v[16:19] offset:48
	ds_write_b128 v24, v[4:7] offset:80
.LBB0_15:
	s_or_b64 exec, exec, s[2:3]
	s_movk_i32 s2, 0xab
	v_mul_lo_u16_sdwa v8, v48, s2 dst_sel:DWORD dst_unused:UNUSED_PAD src0_sel:BYTE_0 src1_sel:DWORD
	v_lshrrev_b16_e32 v12, 10, v8
	v_mul_lo_u16_e32 v8, 6, v12
	v_sub_u16_e32 v13, v48, v8
	v_mov_b32_e32 v8, 9
	v_mul_u32_u24_sdwa v8, v13, v8 dst_sel:DWORD dst_unused:UNUSED_PAD src0_sel:BYTE_0 src1_sel:DWORD
	v_lshlrev_b32_e32 v46, 4, v8
	s_waitcnt lgkmcnt(0)
	s_barrier
	global_load_dwordx4 v[8:11], v46, s[8:9]
	global_load_dwordx4 v[14:17], v46, s[8:9] offset:16
	global_load_dwordx4 v[18:21], v46, s[8:9] offset:32
	;; [unrolled: 1-line block ×8, first 2 shown]
	v_lshlrev_b32_e32 v46, 4, v52
	s_movk_i32 s10, 0xffb0
	ds_read_b128 v[62:65], v55
	ds_read_b128 v[66:69], v49 offset:8640
	v_add3_u32 v60, 0, v46, v53
	v_mad_i32_i24 v61, v48, s10, v54
	v_add_u32_e32 v59, v61, v53
	ds_read_b128 v[70:73], v60
	ds_read_b128 v[74:77], v49 offset:10368
	ds_read_b128 v[78:81], v59 offset:3456
	;; [unrolled: 1-line block ×7, first 2 shown]
	s_mov_b32 s2, 0x134454ff
	s_mov_b32 s3, 0x3fee6f0e
	;; [unrolled: 1-line block ×12, first 2 shown]
	s_waitcnt vmcnt(0) lgkmcnt(0)
	s_barrier
	v_mul_f64 v[46:47], v[72:73], v[10:11]
	v_mul_f64 v[10:11], v[70:71], v[10:11]
	;; [unrolled: 1-line block ×18, first 2 shown]
	v_fma_f64 v[46:47], v[70:71], v[8:9], -v[46:47]
	v_fma_f64 v[8:9], v[72:73], v[8:9], v[10:11]
	v_fma_f64 v[10:11], v[78:79], v[14:15], -v[102:103]
	v_fma_f64 v[14:15], v[80:81], v[14:15], v[16:17]
	;; [unrolled: 2-line block ×6, first 2 shown]
	v_fma_f64 v[32:33], v[96:97], v[34:35], v[112:113]
	v_fma_f64 v[34:35], v[94:95], v[34:35], -v[36:37]
	v_fma_f64 v[36:37], v[90:91], v[38:39], -v[114:115]
	v_fma_f64 v[38:39], v[92:93], v[38:39], v[40:41]
	v_fma_f64 v[40:41], v[98:99], v[42:43], -v[116:117]
	v_fma_f64 v[42:43], v[100:101], v[42:43], v[44:45]
	v_add_f64 v[44:45], v[62:63], v[10:11]
	v_add_f64 v[66:67], v[20:21], v[28:29]
	;; [unrolled: 1-line block ×4, first 2 shown]
	v_add_f64 v[68:69], v[14:15], -v[32:33]
	v_add_f64 v[74:75], v[14:15], v[32:33]
	v_add_f64 v[76:77], v[10:11], -v[20:21]
	v_add_f64 v[80:81], v[20:21], -v[10:11]
	;; [unrolled: 1-line block ×3, first 2 shown]
	v_add_f64 v[84:85], v[64:65], v[14:15]
	v_add_f64 v[10:11], v[10:11], -v[34:35]
	v_add_f64 v[92:93], v[20:21], -v[28:29]
	v_fma_f64 v[66:67], v[66:67], -0.5, v[62:63]
	v_fma_f64 v[62:63], v[70:71], -0.5, v[62:63]
	;; [unrolled: 1-line block ×3, first 2 shown]
	v_add_f64 v[20:21], v[44:45], v[20:21]
	v_add_f64 v[78:79], v[34:35], -v[28:29]
	v_add_f64 v[86:87], v[14:15], -v[22:23]
	;; [unrolled: 1-line block ×5, first 2 shown]
	v_fma_f64 v[64:65], v[74:75], -0.5, v[64:65]
	v_add_f64 v[74:75], v[80:81], v[82:83]
	v_add_f64 v[22:23], v[84:85], v[22:23]
	v_fma_f64 v[80:81], v[68:69], s[2:3], v[66:67]
	v_add_f64 v[20:21], v[20:21], v[28:29]
	v_fma_f64 v[28:29], v[10:11], s[10:11], v[70:71]
	v_add_f64 v[94:95], v[46:47], v[16:17]
	v_add_f64 v[98:99], v[30:31], -v[32:33]
	v_add_f64 v[72:73], v[76:77], v[78:79]
	v_add_f64 v[44:45], v[86:87], v[88:89]
	v_fma_f64 v[82:83], v[90:91], s[10:11], v[62:63]
	v_fma_f64 v[62:63], v[90:91], s[2:3], v[62:63]
	v_add_f64 v[22:23], v[22:23], v[30:31]
	v_fma_f64 v[30:31], v[10:11], s[2:3], v[70:71]
	v_fma_f64 v[80:81], v[90:91], s[4:5], v[80:81]
	;; [unrolled: 1-line block ×3, first 2 shown]
	v_add_f64 v[96:97], v[24:25], v[36:37]
	v_add_f64 v[76:77], v[94:95], v[24:25]
	v_fma_f64 v[66:67], v[68:69], s[10:11], v[66:67]
	v_fma_f64 v[70:71], v[92:93], s[2:3], v[64:65]
	;; [unrolled: 1-line block ×8, first 2 shown]
	v_add_f64 v[28:29], v[16:17], v[40:41]
	v_add_f64 v[100:101], v[18:19], -v[42:43]
	v_fma_f64 v[78:79], v[96:97], -0.5, v[46:47]
	v_fma_f64 v[66:67], v[90:91], s[14:15], v[66:67]
	v_add_f64 v[14:15], v[14:15], v[98:99]
	v_fma_f64 v[84:85], v[44:45], s[6:7], v[30:31]
	v_fma_f64 v[30:31], v[10:11], s[14:15], v[70:71]
	;; [unrolled: 1-line block ×3, first 2 shown]
	v_fma_f64 v[28:29], v[28:29], -0.5, v[46:47]
	v_add_f64 v[44:45], v[76:77], v[36:37]
	v_add_f64 v[46:47], v[26:27], v[38:39]
	;; [unrolled: 1-line block ×5, first 2 shown]
	v_fma_f64 v[66:67], v[72:73], s[6:7], v[66:67]
	v_fma_f64 v[72:73], v[74:75], s[6:7], v[82:83]
	;; [unrolled: 1-line block ×4, first 2 shown]
	v_add_f64 v[34:35], v[26:27], -v[38:39]
	v_add_f64 v[62:63], v[16:17], -v[24:25]
	;; [unrolled: 1-line block ×3, first 2 shown]
	v_fma_f64 v[70:71], v[100:101], s[10:11], v[78:79]
	v_fma_f64 v[76:77], v[14:15], s[6:7], v[30:31]
	;; [unrolled: 1-line block ×3, first 2 shown]
	v_add_f64 v[10:11], v[44:45], v[40:41]
	v_fma_f64 v[44:45], v[46:47], -0.5, v[8:9]
	v_add_f64 v[46:47], v[16:17], -v[40:41]
	v_fma_f64 v[64:65], v[64:65], -0.5, v[8:9]
	v_add_f64 v[16:17], v[24:25], -v[16:17]
	v_add_f64 v[24:25], v[24:25], -v[36:37]
	v_add_f64 v[36:37], v[36:37], -v[40:41]
	v_add_f64 v[8:9], v[8:9], v[18:19]
	v_fma_f64 v[32:33], v[34:35], s[4:5], v[32:33]
	v_add_f64 v[62:63], v[62:63], v[82:83]
	v_fma_f64 v[30:31], v[34:35], s[10:11], v[28:29]
	v_add_f64 v[78:79], v[18:19], -v[26:27]
	v_add_f64 v[82:83], v[42:43], -v[38:39]
	v_fma_f64 v[40:41], v[34:35], s[14:15], v[70:71]
	v_fma_f64 v[28:29], v[34:35], s[2:3], v[28:29]
	;; [unrolled: 1-line block ×3, first 2 shown]
	v_add_f64 v[18:19], v[26:27], -v[18:19]
	v_fma_f64 v[70:71], v[24:25], s[2:3], v[64:65]
	v_add_f64 v[16:17], v[16:17], v[36:37]
	v_add_f64 v[36:37], v[38:39], -v[42:43]
	v_fma_f64 v[64:65], v[24:25], s[10:11], v[64:65]
	v_add_f64 v[8:9], v[8:9], v[26:27]
	v_fma_f64 v[44:45], v[46:47], s[2:3], v[44:45]
	v_add_f64 v[26:27], v[78:79], v[82:83]
	v_fma_f64 v[34:35], v[24:25], s[14:15], v[34:35]
	v_fma_f64 v[30:31], v[100:101], s[4:5], v[30:31]
	;; [unrolled: 1-line block ×3, first 2 shown]
	v_add_f64 v[18:19], v[18:19], v[36:37]
	v_fma_f64 v[28:29], v[100:101], s[14:15], v[28:29]
	v_fma_f64 v[36:37], v[46:47], s[4:5], v[64:65]
	v_add_f64 v[8:9], v[8:9], v[38:39]
	v_fma_f64 v[24:25], v[24:25], s[4:5], v[44:45]
	v_fma_f64 v[32:33], v[62:63], s[6:7], v[32:33]
	;; [unrolled: 1-line block ×8, first 2 shown]
	v_add_f64 v[64:65], v[8:9], v[42:43]
	v_fma_f64 v[8:9], v[26:27], s[6:7], v[24:25]
	v_mul_f64 v[24:25], v[34:35], s[4:5]
	v_mul_f64 v[44:45], v[32:33], s[14:15]
	;; [unrolled: 1-line block ×8, first 2 shown]
	v_fma_f64 v[24:25], v[32:33], s[16:17], v[24:25]
	v_fma_f64 v[82:83], v[34:35], s[16:17], v[44:45]
	;; [unrolled: 1-line block ×4, first 2 shown]
	v_fma_f64 v[18:19], v[18:19], s[2:3], -v[36:37]
	v_fma_f64 v[88:89], v[16:17], s[10:11], -v[62:63]
	;; [unrolled: 1-line block ×4, first 2 shown]
	v_add_f64 v[28:29], v[20:21], v[10:11]
	v_add_f64 v[30:31], v[22:23], v[64:65]
	;; [unrolled: 1-line block ×10, first 2 shown]
	v_add_f64 v[62:63], v[20:21], -v[10:11]
	v_add_f64 v[64:65], v[22:23], -v[64:65]
	;; [unrolled: 1-line block ×3, first 2 shown]
	s_movk_i32 s2, 0x3c0
	v_mov_b32_e32 v14, 4
	v_add_f64 v[8:9], v[68:69], -v[24:25]
	v_add_f64 v[10:11], v[80:81], -v[82:83]
	v_mad_u32_u24 v12, v12, s2, 0
	v_lshlrev_b32_sdwa v13, v14, v13 dst_sel:DWORD dst_unused:UNUSED_PAD src0_sel:DWORD src1_sel:BYTE_0
	v_add_f64 v[16:17], v[72:73], -v[26:27]
	v_add_f64 v[20:21], v[74:75], -v[18:19]
	;; [unrolled: 1-line block ×3, first 2 shown]
	v_add3_u32 v12, v12, v13, v53
	v_add_f64 v[24:25], v[66:67], -v[78:79]
	v_add_f64 v[26:27], v[84:85], -v[70:71]
	ds_write_b128 v12, v[28:31]
	ds_write_b128 v12, v[32:35] offset:96
	ds_write_b128 v12, v[36:39] offset:192
	;; [unrolled: 1-line block ×9, first 2 shown]
	s_waitcnt lgkmcnt(0)
	s_barrier
	ds_read_b128 v[12:15], v55
	ds_read_b128 v[44:47], v49 offset:2880
	ds_read_b128 v[40:43], v49 offset:5760
	;; [unrolled: 1-line block ×5, first 2 shown]
	s_and_saveexec_b64 s[2:3], vcc
	s_cbranch_execz .LBB0_17
; %bb.16:
	ds_read_b128 v[16:19], v49 offset:4608
	ds_read_b128 v[20:23], v49 offset:7488
	;; [unrolled: 1-line block ×4, first 2 shown]
	ds_read_b128 v[8:11], v60
	ds_read_b128 v[4:7], v49 offset:16128
.LBB0_17:
	s_or_b64 exec, exec, s[2:3]
	v_subrev_u32_e32 v54, 60, v48
	v_cmp_gt_u32_e64 s[2:3], 60, v48
	v_cndmask_b32_e64 v117, v54, v48, s[2:3]
	v_mul_i32_i24_e32 v62, 5, v117
	v_mov_b32_e32 v63, 0
	v_lshlrev_b64 v[62:63], 4, v[62:63]
	v_mov_b32_e32 v54, s9
	v_add_co_u32_e64 v79, s[2:3], s8, v62
	v_addc_co_u32_e64 v80, s[2:3], v54, v63, s[2:3]
	s_movk_i32 s2, 0x89
	v_mul_lo_u16_sdwa v54, v52, s2 dst_sel:DWORD dst_unused:UNUSED_PAD src0_sel:BYTE_0 src1_sel:DWORD
	v_lshrrev_b16_e32 v54, 13, v54
	v_mul_lo_u16_e32 v62, 60, v54
	v_sub_u16_e32 v62, v52, v62
	v_mov_b32_e32 v81, 5
	global_load_dwordx4 v[63:66], v[79:80], off offset:912
	global_load_dwordx4 v[67:70], v[79:80], off offset:896
	;; [unrolled: 1-line block ×4, first 2 shown]
	v_mul_u32_u24_sdwa v83, v62, v81 dst_sel:DWORD dst_unused:UNUSED_PAD src0_sel:BYTE_0 src1_sel:DWORD
	global_load_dwordx4 v[79:82], v[79:80], off offset:928
	v_lshlrev_b32_e32 v103, 4, v83
	global_load_dwordx4 v[83:86], v103, s[8:9] offset:864
	global_load_dwordx4 v[87:90], v103, s[8:9] offset:880
	;; [unrolled: 1-line block ×5, first 2 shown]
	s_mov_b32 s2, 0xe8584caa
	s_mov_b32 s3, 0x3febb67a
	;; [unrolled: 1-line block ×4, first 2 shown]
	s_waitcnt vmcnt(0) lgkmcnt(0)
	s_barrier
	v_mul_f64 v[109:110], v[34:35], v[65:66]
	v_mul_f64 v[107:108], v[38:39], v[69:70]
	;; [unrolled: 1-line block ×10, first 2 shown]
	v_fma_f64 v[36:37], v[36:37], v[67:68], -v[107:108]
	v_fma_f64 v[42:43], v[42:43], v[71:72], v[73:74]
	v_mul_f64 v[73:74], v[4:5], v[101:102]
	v_fma_f64 v[28:29], v[28:29], v[79:80], -v[111:112]
	v_mul_f64 v[113:114], v[18:19], v[85:86]
	v_mul_f64 v[85:86], v[16:17], v[85:86]
	;; [unrolled: 1-line block ×4, first 2 shown]
	v_fma_f64 v[44:45], v[44:45], v[75:76], -v[103:104]
	v_fma_f64 v[46:47], v[46:47], v[75:76], v[77:78]
	v_mul_f64 v[75:76], v[26:27], v[93:94]
	v_mul_f64 v[77:78], v[24:25], v[93:94]
	;; [unrolled: 1-line block ×4, first 2 shown]
	v_fma_f64 v[40:41], v[40:41], v[71:72], -v[105:106]
	v_mul_f64 v[71:72], v[6:7], v[101:102]
	v_fma_f64 v[38:39], v[38:39], v[67:68], v[69:70]
	v_fma_f64 v[32:33], v[32:33], v[63:64], -v[109:110]
	v_fma_f64 v[34:35], v[34:35], v[63:64], v[65:66]
	v_fma_f64 v[30:31], v[30:31], v[79:80], v[81:82]
	;; [unrolled: 1-line block ×3, first 2 shown]
	v_add_f64 v[73:74], v[36:37], v[28:29]
	v_fma_f64 v[69:70], v[18:19], v[83:84], v[85:86]
	v_fma_f64 v[18:19], v[20:21], v[87:88], -v[115:116]
	v_fma_f64 v[20:21], v[22:23], v[87:88], v[89:90]
	v_fma_f64 v[22:23], v[24:25], v[91:92], -v[75:76]
	;; [unrolled: 2-line block ×4, first 2 shown]
	v_add_f64 v[26:27], v[12:13], v[40:41]
	v_add_f64 v[63:64], v[40:41], v[32:33]
	v_add_f64 v[65:66], v[42:43], -v[34:35]
	v_add_f64 v[67:68], v[14:15], v[42:43]
	v_add_f64 v[42:43], v[42:43], v[34:35]
	;; [unrolled: 1-line block ×3, first 2 shown]
	v_add_f64 v[75:76], v[38:39], -v[30:31]
	v_add_f64 v[77:78], v[46:47], v[38:39]
	v_add_f64 v[38:39], v[38:39], v[30:31]
	v_fma_f64 v[44:45], v[73:74], -0.5, v[44:45]
	v_fma_f64 v[16:17], v[16:17], v[83:84], -v[113:114]
	v_add_f64 v[40:41], v[40:41], -v[32:33]
	v_add_f64 v[36:37], v[36:37], -v[28:29]
	v_add_f64 v[79:80], v[8:9], v[18:19]
	v_add_f64 v[81:82], v[18:19], v[0:1]
	v_add_f64 v[83:84], v[20:21], -v[2:3]
	v_add_f64 v[85:86], v[10:11], v[20:21]
	v_add_f64 v[20:21], v[20:21], v[2:3]
	v_add_f64 v[87:88], v[18:19], -v[0:1]
	v_add_f64 v[18:19], v[22:23], v[4:5]
	v_add_f64 v[93:94], v[24:25], v[6:7]
	v_add_f64 v[26:27], v[26:27], v[32:33]
	v_fma_f64 v[32:33], v[63:64], -0.5, v[12:13]
	v_fma_f64 v[42:43], v[42:43], -0.5, v[14:15]
	v_add_f64 v[28:29], v[71:72], v[28:29]
	v_fma_f64 v[38:39], v[38:39], -0.5, v[46:47]
	v_fma_f64 v[63:64], v[75:76], s[4:5], v[44:45]
	v_add_f64 v[89:90], v[16:17], v[22:23]
	v_add_f64 v[91:92], v[24:25], -v[6:7]
	v_add_f64 v[22:23], v[22:23], -v[4:5]
	v_add_f64 v[34:35], v[67:68], v[34:35]
	v_add_f64 v[30:31], v[77:78], v[30:31]
	;; [unrolled: 1-line block ×3, first 2 shown]
	v_fma_f64 v[0:1], v[81:82], -0.5, v[8:9]
	v_add_f64 v[14:15], v[85:86], v[2:3]
	v_fma_f64 v[2:3], v[20:21], -0.5, v[10:11]
	v_fma_f64 v[8:9], v[18:19], -0.5, v[16:17]
	;; [unrolled: 1-line block ×3, first 2 shown]
	v_fma_f64 v[20:21], v[65:66], s[2:3], v[32:33]
	v_fma_f64 v[32:33], v[65:66], s[4:5], v[32:33]
	;; [unrolled: 1-line block ×7, first 2 shown]
	v_add_f64 v[36:37], v[26:27], v[28:29]
	v_add_f64 v[40:41], v[26:27], -v[28:29]
	v_mul_f64 v[28:29], v[63:64], -0.5
	v_add_f64 v[38:39], v[34:35], v[30:31]
	v_mul_f64 v[26:27], v[46:47], s[2:3]
	v_add_f64 v[42:43], v[34:35], -v[30:31]
	v_mul_f64 v[71:72], v[65:66], -0.5
	v_fma_f64 v[16:17], v[83:84], s[2:3], v[0:1]
	v_fma_f64 v[18:19], v[83:84], s[4:5], v[0:1]
	;; [unrolled: 1-line block ×7, first 2 shown]
	v_mul_f64 v[67:68], v[44:45], s[4:5]
	v_fma_f64 v[26:27], v[44:45], 0.5, v[26:27]
	v_fma_f64 v[79:80], v[63:64], s[4:5], v[71:72]
	v_mul_f64 v[22:23], v[0:1], s[2:3]
	v_add_f64 v[63:64], v[32:33], v[28:29]
	v_add_f64 v[71:72], v[32:33], -v[28:29]
	v_mul_f64 v[28:29], v[8:9], -0.5
	v_add_f64 v[32:33], v[69:70], v[24:25]
	v_mul_f64 v[69:70], v[34:35], s[4:5]
	v_mul_f64 v[81:82], v[10:11], -0.5
	v_fma_f64 v[77:78], v[46:47], 0.5, v[67:68]
	v_add_f64 v[44:45], v[20:21], v[26:27]
	v_add_f64 v[67:68], v[20:21], -v[26:27]
	v_fma_f64 v[26:27], v[87:88], s[4:5], v[2:3]
	v_fma_f64 v[30:31], v[87:88], s[2:3], v[2:3]
	v_add_f64 v[20:21], v[89:90], v[4:5]
	v_fma_f64 v[22:23], v[34:35], 0.5, v[22:23]
	v_fma_f64 v[24:25], v[10:11], s[2:3], v[28:29]
	v_add_f64 v[28:29], v[32:33], v[6:7]
	v_fma_f64 v[32:33], v[0:1], 0.5, v[69:70]
	v_fma_f64 v[34:35], v[8:9], s[4:5], v[81:82]
	v_add_f64 v[46:47], v[73:74], v[77:78]
	v_add_f64 v[65:66], v[75:76], v[79:80]
	v_add_f64 v[0:1], v[12:13], -v[20:21]
	v_add_f64 v[4:5], v[16:17], -v[22:23]
	;; [unrolled: 1-line block ×8, first 2 shown]
	v_mov_b32_e32 v75, 0x1680
	v_cmp_lt_u32_e64 s[2:3], 59, v48
	v_cndmask_b32_e64 v75, 0, v75, s[2:3]
	v_add_u32_e32 v75, 0, v75
	v_lshlrev_b32_e32 v76, 4, v117
	s_movk_i32 s4, 0x1680
	v_add3_u32 v75, v75, v76, v53
	ds_write_b128 v75, v[36:39]
	ds_write_b128 v75, v[44:47] offset:960
	ds_write_b128 v75, v[63:66] offset:1920
	ds_write_b128 v75, v[40:43] offset:2880
	ds_write_b128 v75, v[67:70] offset:3840
	ds_write_b128 v75, v[71:74] offset:4800
	s_and_saveexec_b64 s[2:3], vcc
	s_cbranch_execz .LBB0_19
; %bb.18:
	v_add_f64 v[14:15], v[14:15], v[28:29]
	v_add_f64 v[12:13], v[12:13], v[20:21]
	;; [unrolled: 1-line block ×6, first 2 shown]
	v_mov_b32_e32 v17, 4
	v_mad_u32_u24 v16, v54, s4, 0
	v_lshlrev_b32_sdwa v17, v17, v62 dst_sel:DWORD dst_unused:UNUSED_PAD src0_sel:DWORD src1_sel:BYTE_0
	v_add3_u32 v16, v16, v17, v53
	ds_write_b128 v16, v[12:15]
	ds_write_b128 v16, v[32:35] offset:960
	ds_write_b128 v16, v[28:31] offset:1920
	;; [unrolled: 1-line block ×5, first 2 shown]
.LBB0_19:
	s_or_b64 exec, exec, s[2:3]
	s_waitcnt lgkmcnt(0)
	s_barrier
	ds_read_b128 v[16:19], v55
	ds_read_b128 v[40:43], v49 offset:5760
	ds_read_b128 v[28:31], v49 offset:11520
	ds_read_b128 v[24:27], v49 offset:13248
	ds_read_b128 v[12:15], v59 offset:3456
	ds_read_b128 v[44:47], v49 offset:7488
	ds_read_b128 v[32:35], v49 offset:9216
	ds_read_b128 v[20:23], v60
	ds_read_b128 v[36:39], v49 offset:14976
	v_cmp_gt_u32_e32 vcc, 36, v48
	s_and_saveexec_b64 s[2:3], vcc
	s_cbranch_execz .LBB0_21
; %bb.20:
	ds_read_b128 v[0:3], v59 offset:5184
	ds_read_b128 v[4:7], v49 offset:10944
	;; [unrolled: 1-line block ×3, first 2 shown]
.LBB0_21:
	s_or_b64 exec, exec, s[2:3]
	v_lshlrev_b32_e32 v53, 1, v48
	v_mov_b32_e32 v54, 0
	v_lshlrev_b64 v[62:63], 4, v[53:54]
	v_mov_b32_e32 v82, s9
	v_add_co_u32_e64 v62, s[2:3], s8, v62
	v_addc_co_u32_e64 v63, s[2:3], v82, v63, s[2:3]
	s_movk_i32 s4, 0x1620
	v_add_co_u32_e64 v70, s[2:3], s4, v62
	v_addc_co_u32_e64 v71, s[2:3], 0, v63, s[2:3]
	s_movk_i32 s10, 0x1000
	v_add_co_u32_e64 v72, s[2:3], s10, v62
	v_addc_co_u32_e64 v73, s[2:3], 0, v63, s[2:3]
	global_load_dwordx4 v[62:65], v[72:73], off offset:1568
	global_load_dwordx4 v[66:69], v[70:71], off offset:16
	v_lshlrev_b32_e32 v70, 1, v52
	v_mov_b32_e32 v71, v54
	v_lshlrev_b64 v[70:71], 4, v[70:71]
	v_add_u32_e32 v53, 0x1b0, v53
	v_add_co_u32_e64 v70, s[2:3], s8, v70
	v_addc_co_u32_e64 v71, s[2:3], v82, v71, s[2:3]
	v_add_co_u32_e64 v78, s[2:3], s4, v70
	v_addc_co_u32_e64 v79, s[2:3], 0, v71, s[2:3]
	;; [unrolled: 2-line block ×3, first 2 shown]
	global_load_dwordx4 v[70:73], v[80:81], off offset:1568
	global_load_dwordx4 v[74:77], v[78:79], off offset:16
	v_lshlrev_b64 v[78:79], 4, v[53:54]
	v_add_co_u32_e64 v53, s[2:3], s8, v78
	v_addc_co_u32_e64 v83, s[2:3], v82, v79, s[2:3]
	v_add_co_u32_e64 v78, s[2:3], s10, v53
	v_addc_co_u32_e64 v79, s[2:3], 0, v83, s[2:3]
	;; [unrolled: 2-line block ×3, first 2 shown]
	global_load_dwordx4 v[78:81], v[78:79], off offset:1568
	v_lshl_add_u32 v53, v58, 4, v61
	global_load_dwordx4 v[82:85], v[82:83], off offset:16
	s_mov_b32 s2, 0xe8584caa
	s_mov_b32 s3, 0x3febb67a
	;; [unrolled: 1-line block ×3, first 2 shown]
	s_waitcnt vmcnt(0) lgkmcnt(0)
	s_barrier
	v_mul_f64 v[86:87], v[42:43], v[64:65]
	v_mul_f64 v[64:65], v[40:41], v[64:65]
	;; [unrolled: 1-line block ×4, first 2 shown]
	v_fma_f64 v[40:41], v[40:41], v[62:63], -v[86:87]
	v_fma_f64 v[42:43], v[42:43], v[62:63], v[64:65]
	v_fma_f64 v[28:29], v[28:29], v[66:67], -v[88:89]
	v_fma_f64 v[30:31], v[30:31], v[66:67], v[68:69]
	v_mul_f64 v[90:91], v[46:47], v[72:73]
	v_mul_f64 v[72:73], v[44:45], v[72:73]
	;; [unrolled: 1-line block ×4, first 2 shown]
	v_add_f64 v[67:68], v[18:19], v[42:43]
	v_fma_f64 v[44:45], v[44:45], v[70:71], -v[90:91]
	v_fma_f64 v[46:47], v[46:47], v[70:71], v[72:73]
	v_fma_f64 v[61:62], v[24:25], v[74:75], -v[92:93]
	v_fma_f64 v[63:64], v[26:27], v[74:75], v[76:77]
	v_mul_f64 v[94:95], v[34:35], v[80:81]
	v_mul_f64 v[80:81], v[32:33], v[80:81]
	;; [unrolled: 1-line block ×4, first 2 shown]
	v_add_f64 v[71:72], v[44:45], v[61:62]
	v_add_f64 v[73:74], v[46:47], -v[63:64]
	v_add_f64 v[75:76], v[22:23], v[46:47]
	v_add_f64 v[46:47], v[46:47], v[63:64]
	v_fma_f64 v[24:25], v[32:33], v[78:79], -v[94:95]
	v_fma_f64 v[26:27], v[34:35], v[78:79], v[80:81]
	v_fma_f64 v[32:33], v[36:37], v[82:83], -v[96:97]
	v_fma_f64 v[65:66], v[38:39], v[82:83], v[84:85]
	v_add_f64 v[34:35], v[16:17], v[40:41]
	v_add_f64 v[36:37], v[40:41], v[28:29]
	v_add_f64 v[38:39], v[42:43], -v[30:31]
	v_add_f64 v[42:43], v[42:43], v[30:31]
	v_add_f64 v[40:41], v[40:41], -v[28:29]
	v_add_f64 v[69:70], v[20:21], v[44:45]
	v_add_f64 v[79:80], v[24:25], v[32:33]
	;; [unrolled: 1-line block ×3, first 2 shown]
	v_add_f64 v[44:45], v[44:45], -v[61:62]
	v_add_f64 v[77:78], v[12:13], v[24:25]
	v_add_f64 v[81:82], v[26:27], -v[65:66]
	v_add_f64 v[83:84], v[14:15], v[26:27]
	;; [unrolled: 2-line block ×3, first 2 shown]
	v_fma_f64 v[28:29], v[36:37], -0.5, v[16:17]
	v_add_f64 v[26:27], v[67:68], v[30:31]
	v_fma_f64 v[30:31], v[42:43], -0.5, v[18:19]
	v_fma_f64 v[34:35], v[71:72], -0.5, v[20:21]
	;; [unrolled: 1-line block ×5, first 2 shown]
	v_add_f64 v[20:21], v[77:78], v[32:33]
	v_fma_f64 v[12:13], v[38:39], s[2:3], v[28:29]
	v_fma_f64 v[28:29], v[38:39], s[4:5], v[28:29]
	;; [unrolled: 1-line block ×12, first 2 shown]
	v_add_f64 v[16:17], v[69:70], v[61:62]
	v_add_f64 v[18:19], v[75:76], v[63:64]
	;; [unrolled: 1-line block ×3, first 2 shown]
	ds_write_b128 v49, v[24:27]
	ds_write_b128 v49, v[12:15] offset:5760
	ds_write_b128 v49, v[28:31] offset:11520
	ds_write_b128 v60, v[16:19]
	ds_write_b128 v60, v[32:35] offset:5760
	ds_write_b128 v60, v[36:39] offset:11520
	;; [unrolled: 1-line block ×3, first 2 shown]
	v_add_u32_e32 v12, 0x2000, v53
	ds_write2_b64 v12, v[40:41], v[44:45] offset0:128 offset1:129
	v_add_u32_e32 v12, 0x3800, v53
	ds_write2_b64 v12, v[42:43], v[46:47] offset0:80 offset1:81
	s_and_saveexec_b64 s[6:7], vcc
	s_cbranch_execz .LBB0_23
; %bb.22:
	v_not_b32_e32 v12, 35
	v_mov_b32_e32 v13, 0x144
	v_cndmask_b32_e32 v12, v12, v13, vcc
	v_add_lshl_u32 v53, v48, v12, 1
	v_lshlrev_b64 v[12:13], 4, v[53:54]
	v_mov_b32_e32 v14, s9
	v_add_co_u32_e32 v12, vcc, s8, v12
	v_addc_co_u32_e32 v13, vcc, v14, v13, vcc
	v_add_co_u32_e32 v20, vcc, 0x1620, v12
	v_addc_co_u32_e32 v21, vcc, 0, v13, vcc
	;; [unrolled: 2-line block ×3, first 2 shown]
	global_load_dwordx4 v[12:15], v[22:23], off offset:1568
	global_load_dwordx4 v[16:19], v[20:21], off offset:16
	s_waitcnt vmcnt(1)
	v_mul_f64 v[20:21], v[4:5], v[14:15]
	s_waitcnt vmcnt(0)
	v_mul_f64 v[22:23], v[8:9], v[18:19]
	v_mul_f64 v[14:15], v[6:7], v[14:15]
	;; [unrolled: 1-line block ×3, first 2 shown]
	v_fma_f64 v[6:7], v[6:7], v[12:13], v[20:21]
	v_fma_f64 v[10:11], v[10:11], v[16:17], v[22:23]
	v_fma_f64 v[4:5], v[4:5], v[12:13], -v[14:15]
	v_fma_f64 v[8:9], v[8:9], v[16:17], -v[18:19]
	v_add_f64 v[18:19], v[2:3], v[6:7]
	v_add_f64 v[12:13], v[6:7], v[10:11]
	v_add_f64 v[20:21], v[6:7], -v[10:11]
	v_add_f64 v[14:15], v[4:5], v[8:9]
	v_add_f64 v[16:17], v[4:5], -v[8:9]
	v_add_f64 v[4:5], v[0:1], v[4:5]
	v_fma_f64 v[12:13], v[12:13], -0.5, v[2:3]
	v_add_f64 v[2:3], v[18:19], v[10:11]
	v_fma_f64 v[14:15], v[14:15], -0.5, v[0:1]
	v_add_f64 v[0:1], v[4:5], v[8:9]
	v_fma_f64 v[10:11], v[16:17], s[4:5], v[12:13]
	v_fma_f64 v[6:7], v[16:17], s[2:3], v[12:13]
	;; [unrolled: 1-line block ×4, first 2 shown]
	ds_write_b128 v49, v[0:3] offset:5184
	ds_write_b128 v49, v[8:11] offset:10944
	;; [unrolled: 1-line block ×3, first 2 shown]
.LBB0_23:
	s_or_b64 exec, exec, s[6:7]
	s_waitcnt lgkmcnt(0)
	s_barrier
	ds_read_b128 v[0:3], v55
	s_add_u32 s4, s8, 0x4320
	s_addc_u32 s5, s9, 0
	v_sub_u32_e32 v10, v56, v57
	v_cmp_ne_u32_e32 vcc, 0, v48
                                        ; implicit-def: $vgpr6_vgpr7
                                        ; implicit-def: $vgpr4_vgpr5
                                        ; implicit-def: $vgpr8_vgpr9
	s_and_saveexec_b64 s[2:3], vcc
	s_xor_b64 s[2:3], exec, s[2:3]
	s_cbranch_execz .LBB0_25
; %bb.24:
	v_mov_b32_e32 v49, 0
	v_lshlrev_b64 v[4:5], 4, v[48:49]
	v_mov_b32_e32 v6, s5
	v_add_co_u32_e32 v4, vcc, s4, v4
	v_addc_co_u32_e32 v5, vcc, v6, v5, vcc
	global_load_dwordx4 v[6:9], v[4:5], off
	ds_read_b128 v[11:14], v10 offset:17280
	s_waitcnt lgkmcnt(0)
	v_add_f64 v[4:5], v[0:1], -v[11:12]
	v_add_f64 v[15:16], v[2:3], v[13:14]
	v_add_f64 v[2:3], v[2:3], -v[13:14]
	v_add_f64 v[0:1], v[0:1], v[11:12]
	v_mul_f64 v[4:5], v[4:5], 0.5
	v_mul_f64 v[13:14], v[15:16], 0.5
	;; [unrolled: 1-line block ×3, first 2 shown]
	s_waitcnt vmcnt(0)
	v_mul_f64 v[11:12], v[4:5], v[8:9]
	v_fma_f64 v[15:16], v[13:14], v[8:9], v[2:3]
	v_fma_f64 v[2:3], v[13:14], v[8:9], -v[2:3]
	v_fma_f64 v[8:9], v[0:1], 0.5, v[11:12]
	v_fma_f64 v[0:1], v[0:1], 0.5, -v[11:12]
	v_fma_f64 v[11:12], -v[6:7], v[4:5], v[15:16]
	v_fma_f64 v[2:3], -v[6:7], v[4:5], v[2:3]
	ds_write_b64 v55, v[11:12] offset:8
	ds_write_b64 v10, v[2:3] offset:17288
	v_fma_f64 v[4:5], v[13:14], v[6:7], v[8:9]
	v_mov_b32_e32 v8, v48
	v_fma_f64 v[6:7], -v[13:14], v[6:7], v[0:1]
	v_mov_b32_e32 v9, v49
                                        ; implicit-def: $vgpr0_vgpr1
.LBB0_25:
	s_andn2_saveexec_b64 s[2:3], s[2:3]
	s_cbranch_execz .LBB0_27
; %bb.26:
	s_mov_b32 s6, 0
	s_mov_b32 s7, s6
	v_mov_b32_e32 v9, s7
	s_waitcnt lgkmcnt(0)
	v_add_f64 v[4:5], v[0:1], v[2:3]
	v_mov_b32_e32 v8, s6
	v_add_f64 v[6:7], v[0:1], -v[2:3]
	ds_write_b64 v55, v[8:9] offset:8
	ds_write_b64 v10, v[8:9] offset:17288
	ds_read_b64 v[0:1], v56 offset:8648
	v_mov_b32_e32 v8, 0
	v_mov_b32_e32 v9, 0
	s_waitcnt lgkmcnt(0)
	v_xor_b32_e32 v1, 0x80000000, v1
	ds_write_b64 v56, v[0:1] offset:8648
.LBB0_27:
	s_or_b64 exec, exec, s[2:3]
	v_mov_b32_e32 v53, 0
	s_waitcnt lgkmcnt(0)
	v_lshlrev_b64 v[0:1], 4, v[52:53]
	v_mov_b32_e32 v2, s5
	v_add_co_u32_e32 v0, vcc, s4, v0
	v_addc_co_u32_e32 v1, vcc, v2, v1, vcc
	global_load_dwordx4 v[11:14], v[0:1], off
	v_lshlrev_b64 v[0:1], 4, v[8:9]
	v_lshl_add_u32 v27, v52, 4, v56
	v_add_co_u32_e32 v19, vcc, s4, v0
	v_addc_co_u32_e32 v20, vcc, v2, v1, vcc
	global_load_dwordx4 v[15:18], v[19:20], off offset:3456
	ds_write_b64 v55, v[4:5]
	ds_write_b64 v10, v[6:7] offset:17280
	ds_read_b128 v[2:5], v27
	ds_read_b128 v[6:9], v10 offset:15552
	s_movk_i32 s2, 0x1000
	v_add_co_u32_e32 v19, vcc, s2, v19
	v_addc_co_u32_e32 v20, vcc, 0, v20, vcc
	s_waitcnt lgkmcnt(0)
	v_add_f64 v[21:22], v[2:3], -v[6:7]
	v_add_f64 v[23:24], v[4:5], v[8:9]
	v_add_f64 v[4:5], v[4:5], -v[8:9]
	v_add_f64 v[2:3], v[2:3], v[6:7]
	v_mul_f64 v[8:9], v[21:22], 0.5
	v_mul_f64 v[21:22], v[23:24], 0.5
	;; [unrolled: 1-line block ×3, first 2 shown]
	s_waitcnt vmcnt(1)
	v_mul_f64 v[6:7], v[8:9], v[13:14]
	v_fma_f64 v[23:24], v[21:22], v[13:14], v[4:5]
	v_fma_f64 v[13:14], v[21:22], v[13:14], -v[4:5]
	v_fma_f64 v[25:26], v[2:3], 0.5, v[6:7]
	v_fma_f64 v[6:7], v[2:3], 0.5, -v[6:7]
	global_load_dwordx4 v[2:5], v[19:20], off offset:1088
	v_fma_f64 v[23:24], -v[11:12], v[8:9], v[23:24]
	v_fma_f64 v[8:9], -v[11:12], v[8:9], v[13:14]
	v_fma_f64 v[13:14], v[21:22], v[11:12], v[25:26]
	v_fma_f64 v[6:7], -v[21:22], v[11:12], v[6:7]
	ds_write2_b64 v27, v[13:14], v[23:24] offset1:1
	ds_write_b128 v10, v[6:9] offset:15552
	ds_read_b128 v[6:9], v55 offset:3456
	ds_read_b128 v[11:14], v10 offset:13824
	s_waitcnt lgkmcnt(0)
	v_add_f64 v[21:22], v[6:7], -v[11:12]
	v_add_f64 v[23:24], v[8:9], v[13:14]
	v_add_f64 v[8:9], v[8:9], -v[13:14]
	v_add_f64 v[6:7], v[6:7], v[11:12]
	v_mul_f64 v[13:14], v[21:22], 0.5
	v_mul_f64 v[21:22], v[23:24], 0.5
	;; [unrolled: 1-line block ×3, first 2 shown]
	s_waitcnt vmcnt(1)
	v_mul_f64 v[11:12], v[13:14], v[17:18]
	v_fma_f64 v[23:24], v[21:22], v[17:18], v[8:9]
	v_fma_f64 v[17:18], v[21:22], v[17:18], -v[8:9]
	v_fma_f64 v[25:26], v[6:7], 0.5, v[11:12]
	v_fma_f64 v[11:12], v[6:7], 0.5, -v[11:12]
	global_load_dwordx4 v[6:9], v[19:20], off offset:2816
	v_fma_f64 v[19:20], -v[15:16], v[13:14], v[23:24]
	v_fma_f64 v[13:14], -v[15:16], v[13:14], v[17:18]
	v_fma_f64 v[17:18], v[21:22], v[15:16], v[25:26]
	v_fma_f64 v[11:12], -v[21:22], v[15:16], v[11:12]
	v_add_u32_e32 v15, 0x800, v55
	ds_write2_b64 v15, v[17:18], v[19:20] offset0:176 offset1:177
	ds_write_b128 v10, v[11:14] offset:13824
	ds_read_b128 v[11:14], v55 offset:5184
	ds_read_b128 v[15:18], v10 offset:12096
	s_waitcnt lgkmcnt(0)
	v_add_f64 v[19:20], v[11:12], -v[15:16]
	v_add_f64 v[21:22], v[13:14], v[17:18]
	v_add_f64 v[13:14], v[13:14], -v[17:18]
	v_add_f64 v[11:12], v[11:12], v[15:16]
	v_mul_f64 v[17:18], v[19:20], 0.5
	v_mul_f64 v[19:20], v[21:22], 0.5
	;; [unrolled: 1-line block ×3, first 2 shown]
	s_waitcnt vmcnt(1)
	v_mul_f64 v[15:16], v[17:18], v[4:5]
	v_fma_f64 v[21:22], v[19:20], v[4:5], v[13:14]
	v_fma_f64 v[4:5], v[19:20], v[4:5], -v[13:14]
	v_fma_f64 v[13:14], v[11:12], 0.5, v[15:16]
	v_fma_f64 v[11:12], v[11:12], 0.5, -v[15:16]
	v_fma_f64 v[15:16], -v[2:3], v[17:18], v[21:22]
	v_fma_f64 v[4:5], -v[2:3], v[17:18], v[4:5]
	v_fma_f64 v[13:14], v[19:20], v[2:3], v[13:14]
	v_fma_f64 v[2:3], -v[19:20], v[2:3], v[11:12]
	v_add_u32_e32 v11, 0x1000, v55
	ds_write2_b64 v11, v[13:14], v[15:16] offset0:136 offset1:137
	ds_write_b128 v10, v[2:5] offset:12096
	ds_read_b128 v[2:5], v55 offset:6912
	ds_read_b128 v[11:14], v10 offset:10368
	s_waitcnt lgkmcnt(0)
	v_add_f64 v[15:16], v[2:3], -v[11:12]
	v_add_f64 v[17:18], v[4:5], v[13:14]
	v_add_f64 v[4:5], v[4:5], -v[13:14]
	v_add_f64 v[2:3], v[2:3], v[11:12]
	v_mul_f64 v[13:14], v[15:16], 0.5
	v_mul_f64 v[15:16], v[17:18], 0.5
	;; [unrolled: 1-line block ×3, first 2 shown]
	s_waitcnt vmcnt(0)
	v_mul_f64 v[11:12], v[13:14], v[8:9]
	v_fma_f64 v[17:18], v[15:16], v[8:9], v[4:5]
	v_fma_f64 v[4:5], v[15:16], v[8:9], -v[4:5]
	v_fma_f64 v[8:9], v[2:3], 0.5, v[11:12]
	v_fma_f64 v[2:3], v[2:3], 0.5, -v[11:12]
	v_fma_f64 v[11:12], -v[6:7], v[13:14], v[17:18]
	v_fma_f64 v[4:5], -v[6:7], v[13:14], v[4:5]
	v_fma_f64 v[8:9], v[15:16], v[6:7], v[8:9]
	v_fma_f64 v[2:3], -v[15:16], v[6:7], v[2:3]
	v_add_u32_e32 v6, 0x1800, v55
	ds_write2_b64 v6, v[8:9], v[11:12] offset0:96 offset1:97
	ds_write_b128 v10, v[2:5] offset:10368
	s_waitcnt lgkmcnt(0)
	s_barrier
	s_and_saveexec_b64 s[4:5], s[0:1]
	s_cbranch_execz .LBB0_30
; %bb.28:
	v_mov_b32_e32 v2, s13
	v_add_co_u32_e32 v3, vcc, s12, v50
	ds_read_b128 v[4:7], v55
	ds_read_b128 v[8:11], v55 offset:1728
	ds_read_b128 v[12:15], v55 offset:3456
	v_addc_co_u32_e32 v2, vcc, v2, v51, vcc
	v_add_co_u32_e32 v0, vcc, v3, v0
	v_addc_co_u32_e32 v1, vcc, v2, v1, vcc
	s_waitcnt lgkmcnt(2)
	global_store_dwordx4 v[0:1], v[4:7], off
	s_waitcnt lgkmcnt(1)
	global_store_dwordx4 v[0:1], v[8:11], off offset:1728
	ds_read_b128 v[4:7], v55 offset:5184
	ds_read_b128 v[8:11], v55 offset:6912
	s_waitcnt lgkmcnt(2)
	global_store_dwordx4 v[0:1], v[12:15], off offset:3456
	s_movk_i32 s0, 0x2000
	v_add_co_u32_e32 v12, vcc, s2, v0
	v_addc_co_u32_e32 v13, vcc, 0, v1, vcc
	s_waitcnt lgkmcnt(1)
	global_store_dwordx4 v[12:13], v[4:7], off offset:1088
	s_waitcnt lgkmcnt(0)
	global_store_dwordx4 v[12:13], v[8:11], off offset:2816
	ds_read_b128 v[4:7], v55 offset:8640
	ds_read_b128 v[8:11], v55 offset:10368
	ds_read_b128 v[12:15], v55 offset:12096
	v_add_co_u32_e32 v16, vcc, s0, v0
	v_addc_co_u32_e32 v17, vcc, 0, v1, vcc
	s_waitcnt lgkmcnt(2)
	global_store_dwordx4 v[16:17], v[4:7], off offset:448
	s_waitcnt lgkmcnt(1)
	global_store_dwordx4 v[16:17], v[8:11], off offset:2176
	;; [unrolled: 2-line block ×3, first 2 shown]
	ds_read_b128 v[4:7], v55 offset:13824
	ds_read_b128 v[8:11], v55 offset:15552
	v_add_co_u32_e32 v0, vcc, 0x3000, v0
	v_addc_co_u32_e32 v1, vcc, 0, v1, vcc
	s_movk_i32 s0, 0x6b
	v_cmp_eq_u32_e32 vcc, s0, v48
	s_waitcnt lgkmcnt(1)
	global_store_dwordx4 v[0:1], v[4:7], off offset:1536
	s_waitcnt lgkmcnt(0)
	global_store_dwordx4 v[0:1], v[8:11], off offset:3264
	s_and_b64 exec, exec, vcc
	s_cbranch_execz .LBB0_30
; %bb.29:
	ds_read_b128 v[4:7], v55 offset:15568
	v_add_co_u32_e32 v0, vcc, 0x4000, v3
	v_addc_co_u32_e32 v1, vcc, 0, v2, vcc
	s_waitcnt lgkmcnt(0)
	global_store_dwordx4 v[0:1], v[4:7], off offset:896
.LBB0_30:
	s_endpgm
	.section	.rodata,"a",@progbits
	.p2align	6, 0x0
	.amdhsa_kernel fft_rtc_fwd_len1080_factors_6_10_6_3_wgs_216_tpt_108_halfLds_dp_ip_CI_unitstride_sbrr_R2C_dirReg
		.amdhsa_group_segment_fixed_size 0
		.amdhsa_private_segment_fixed_size 0
		.amdhsa_kernarg_size 88
		.amdhsa_user_sgpr_count 6
		.amdhsa_user_sgpr_private_segment_buffer 1
		.amdhsa_user_sgpr_dispatch_ptr 0
		.amdhsa_user_sgpr_queue_ptr 0
		.amdhsa_user_sgpr_kernarg_segment_ptr 1
		.amdhsa_user_sgpr_dispatch_id 0
		.amdhsa_user_sgpr_flat_scratch_init 0
		.amdhsa_user_sgpr_private_segment_size 0
		.amdhsa_uses_dynamic_stack 0
		.amdhsa_system_sgpr_private_segment_wavefront_offset 0
		.amdhsa_system_sgpr_workgroup_id_x 1
		.amdhsa_system_sgpr_workgroup_id_y 0
		.amdhsa_system_sgpr_workgroup_id_z 0
		.amdhsa_system_sgpr_workgroup_info 0
		.amdhsa_system_vgpr_workitem_id 0
		.amdhsa_next_free_vgpr 118
		.amdhsa_next_free_sgpr 22
		.amdhsa_reserve_vcc 1
		.amdhsa_reserve_flat_scratch 0
		.amdhsa_float_round_mode_32 0
		.amdhsa_float_round_mode_16_64 0
		.amdhsa_float_denorm_mode_32 3
		.amdhsa_float_denorm_mode_16_64 3
		.amdhsa_dx10_clamp 1
		.amdhsa_ieee_mode 1
		.amdhsa_fp16_overflow 0
		.amdhsa_exception_fp_ieee_invalid_op 0
		.amdhsa_exception_fp_denorm_src 0
		.amdhsa_exception_fp_ieee_div_zero 0
		.amdhsa_exception_fp_ieee_overflow 0
		.amdhsa_exception_fp_ieee_underflow 0
		.amdhsa_exception_fp_ieee_inexact 0
		.amdhsa_exception_int_div_zero 0
	.end_amdhsa_kernel
	.text
.Lfunc_end0:
	.size	fft_rtc_fwd_len1080_factors_6_10_6_3_wgs_216_tpt_108_halfLds_dp_ip_CI_unitstride_sbrr_R2C_dirReg, .Lfunc_end0-fft_rtc_fwd_len1080_factors_6_10_6_3_wgs_216_tpt_108_halfLds_dp_ip_CI_unitstride_sbrr_R2C_dirReg
                                        ; -- End function
	.section	.AMDGPU.csdata,"",@progbits
; Kernel info:
; codeLenInByte = 8868
; NumSgprs: 26
; NumVgprs: 118
; ScratchSize: 0
; MemoryBound: 0
; FloatMode: 240
; IeeeMode: 1
; LDSByteSize: 0 bytes/workgroup (compile time only)
; SGPRBlocks: 3
; VGPRBlocks: 29
; NumSGPRsForWavesPerEU: 26
; NumVGPRsForWavesPerEU: 118
; Occupancy: 2
; WaveLimiterHint : 1
; COMPUTE_PGM_RSRC2:SCRATCH_EN: 0
; COMPUTE_PGM_RSRC2:USER_SGPR: 6
; COMPUTE_PGM_RSRC2:TRAP_HANDLER: 0
; COMPUTE_PGM_RSRC2:TGID_X_EN: 1
; COMPUTE_PGM_RSRC2:TGID_Y_EN: 0
; COMPUTE_PGM_RSRC2:TGID_Z_EN: 0
; COMPUTE_PGM_RSRC2:TIDIG_COMP_CNT: 0
	.type	__hip_cuid_20bb21e7725fa83f,@object ; @__hip_cuid_20bb21e7725fa83f
	.section	.bss,"aw",@nobits
	.globl	__hip_cuid_20bb21e7725fa83f
__hip_cuid_20bb21e7725fa83f:
	.byte	0                               ; 0x0
	.size	__hip_cuid_20bb21e7725fa83f, 1

	.ident	"AMD clang version 19.0.0git (https://github.com/RadeonOpenCompute/llvm-project roc-6.4.0 25133 c7fe45cf4b819c5991fe208aaa96edf142730f1d)"
	.section	".note.GNU-stack","",@progbits
	.addrsig
	.addrsig_sym __hip_cuid_20bb21e7725fa83f
	.amdgpu_metadata
---
amdhsa.kernels:
  - .args:
      - .actual_access:  read_only
        .address_space:  global
        .offset:         0
        .size:           8
        .value_kind:     global_buffer
      - .offset:         8
        .size:           8
        .value_kind:     by_value
      - .actual_access:  read_only
        .address_space:  global
        .offset:         16
        .size:           8
        .value_kind:     global_buffer
      - .actual_access:  read_only
        .address_space:  global
        .offset:         24
        .size:           8
        .value_kind:     global_buffer
      - .offset:         32
        .size:           8
        .value_kind:     by_value
      - .actual_access:  read_only
        .address_space:  global
        .offset:         40
        .size:           8
        .value_kind:     global_buffer
      - .actual_access:  read_only
        .address_space:  global
        .offset:         48
        .size:           8
        .value_kind:     global_buffer
      - .offset:         56
        .size:           4
        .value_kind:     by_value
      - .actual_access:  read_only
        .address_space:  global
        .offset:         64
        .size:           8
        .value_kind:     global_buffer
      - .actual_access:  read_only
        .address_space:  global
        .offset:         72
        .size:           8
        .value_kind:     global_buffer
      - .address_space:  global
        .offset:         80
        .size:           8
        .value_kind:     global_buffer
    .group_segment_fixed_size: 0
    .kernarg_segment_align: 8
    .kernarg_segment_size: 88
    .language:       OpenCL C
    .language_version:
      - 2
      - 0
    .max_flat_workgroup_size: 216
    .name:           fft_rtc_fwd_len1080_factors_6_10_6_3_wgs_216_tpt_108_halfLds_dp_ip_CI_unitstride_sbrr_R2C_dirReg
    .private_segment_fixed_size: 0
    .sgpr_count:     26
    .sgpr_spill_count: 0
    .symbol:         fft_rtc_fwd_len1080_factors_6_10_6_3_wgs_216_tpt_108_halfLds_dp_ip_CI_unitstride_sbrr_R2C_dirReg.kd
    .uniform_work_group_size: 1
    .uses_dynamic_stack: false
    .vgpr_count:     118
    .vgpr_spill_count: 0
    .wavefront_size: 64
amdhsa.target:   amdgcn-amd-amdhsa--gfx906
amdhsa.version:
  - 1
  - 2
...

	.end_amdgpu_metadata
